;; amdgpu-corpus repo=ROCm/rocFFT kind=compiled arch=gfx1100 opt=O3
	.text
	.amdgcn_target "amdgcn-amd-amdhsa--gfx1100"
	.amdhsa_code_object_version 6
	.protected	fft_rtc_back_len891_factors_9_11_3_3_wgs_198_tpt_99_halfLds_sp_op_CI_CI_unitstride_sbrr_dirReg ; -- Begin function fft_rtc_back_len891_factors_9_11_3_3_wgs_198_tpt_99_halfLds_sp_op_CI_CI_unitstride_sbrr_dirReg
	.globl	fft_rtc_back_len891_factors_9_11_3_3_wgs_198_tpt_99_halfLds_sp_op_CI_CI_unitstride_sbrr_dirReg
	.p2align	8
	.type	fft_rtc_back_len891_factors_9_11_3_3_wgs_198_tpt_99_halfLds_sp_op_CI_CI_unitstride_sbrr_dirReg,@function
fft_rtc_back_len891_factors_9_11_3_3_wgs_198_tpt_99_halfLds_sp_op_CI_CI_unitstride_sbrr_dirReg: ; @fft_rtc_back_len891_factors_9_11_3_3_wgs_198_tpt_99_halfLds_sp_op_CI_CI_unitstride_sbrr_dirReg
; %bb.0:
	s_clause 0x2
	s_load_b128 s[8:11], s[0:1], 0x0
	s_load_b128 s[4:7], s[0:1], 0x58
	;; [unrolled: 1-line block ×3, first 2 shown]
	v_mul_u32_u24_e32 v1, 0x296, v0
	v_mov_b32_e32 v7, 0
	v_mov_b32_e32 v5, 0
	;; [unrolled: 1-line block ×3, first 2 shown]
	s_delay_alu instid0(VALU_DEP_4) | instskip(NEXT) | instid1(VALU_DEP_4)
	v_lshrrev_b32_e32 v11, 16, v1
	v_mov_b32_e32 v10, v7
	s_delay_alu instid0(VALU_DEP_2) | instskip(SKIP_2) | instid1(VALU_DEP_1)
	v_lshl_add_u32 v9, s15, 1, v11
	s_waitcnt lgkmcnt(0)
	v_cmp_lt_u64_e64 s2, s[10:11], 2
	s_and_b32 vcc_lo, exec_lo, s2
	s_cbranch_vccnz .LBB0_8
; %bb.1:
	s_load_b64 s[2:3], s[0:1], 0x10
	v_mov_b32_e32 v5, 0
	v_mov_b32_e32 v6, 0
	s_add_u32 s12, s18, 8
	s_addc_u32 s13, s19, 0
	s_add_u32 s14, s16, 8
	s_delay_alu instid0(VALU_DEP_1)
	v_dual_mov_b32 v1, v5 :: v_dual_mov_b32 v2, v6
	s_addc_u32 s15, s17, 0
	s_mov_b64 s[22:23], 1
	s_waitcnt lgkmcnt(0)
	s_add_u32 s20, s2, 8
	s_addc_u32 s21, s3, 0
.LBB0_2:                                ; =>This Inner Loop Header: Depth=1
	s_load_b64 s[24:25], s[20:21], 0x0
                                        ; implicit-def: $vgpr3_vgpr4
	s_mov_b32 s2, exec_lo
	s_waitcnt lgkmcnt(0)
	v_or_b32_e32 v8, s25, v10
	s_delay_alu instid0(VALU_DEP_1)
	v_cmpx_ne_u64_e32 0, v[7:8]
	s_xor_b32 s3, exec_lo, s2
	s_cbranch_execz .LBB0_4
; %bb.3:                                ;   in Loop: Header=BB0_2 Depth=1
	v_cvt_f32_u32_e32 v3, s24
	v_cvt_f32_u32_e32 v4, s25
	s_sub_u32 s2, 0, s24
	s_subb_u32 s26, 0, s25
	s_delay_alu instid0(VALU_DEP_1) | instskip(NEXT) | instid1(VALU_DEP_1)
	v_fmac_f32_e32 v3, 0x4f800000, v4
	v_rcp_f32_e32 v3, v3
	s_waitcnt_depctr 0xfff
	v_mul_f32_e32 v3, 0x5f7ffffc, v3
	s_delay_alu instid0(VALU_DEP_1) | instskip(NEXT) | instid1(VALU_DEP_1)
	v_mul_f32_e32 v4, 0x2f800000, v3
	v_trunc_f32_e32 v4, v4
	s_delay_alu instid0(VALU_DEP_1) | instskip(SKIP_1) | instid1(VALU_DEP_2)
	v_fmac_f32_e32 v3, 0xcf800000, v4
	v_cvt_u32_f32_e32 v4, v4
	v_cvt_u32_f32_e32 v3, v3
	s_delay_alu instid0(VALU_DEP_2) | instskip(NEXT) | instid1(VALU_DEP_2)
	v_mul_lo_u32 v8, s2, v4
	v_mul_hi_u32 v12, s2, v3
	v_mul_lo_u32 v13, s26, v3
	s_delay_alu instid0(VALU_DEP_2) | instskip(SKIP_1) | instid1(VALU_DEP_2)
	v_add_nc_u32_e32 v8, v12, v8
	v_mul_lo_u32 v12, s2, v3
	v_add_nc_u32_e32 v8, v8, v13
	s_delay_alu instid0(VALU_DEP_2) | instskip(NEXT) | instid1(VALU_DEP_2)
	v_mul_hi_u32 v13, v3, v12
	v_mul_lo_u32 v14, v3, v8
	v_mul_hi_u32 v15, v3, v8
	v_mul_hi_u32 v16, v4, v12
	v_mul_lo_u32 v12, v4, v12
	v_mul_hi_u32 v17, v4, v8
	v_mul_lo_u32 v8, v4, v8
	v_add_co_u32 v13, vcc_lo, v13, v14
	v_add_co_ci_u32_e32 v14, vcc_lo, 0, v15, vcc_lo
	s_delay_alu instid0(VALU_DEP_2) | instskip(NEXT) | instid1(VALU_DEP_2)
	v_add_co_u32 v12, vcc_lo, v13, v12
	v_add_co_ci_u32_e32 v12, vcc_lo, v14, v16, vcc_lo
	v_add_co_ci_u32_e32 v13, vcc_lo, 0, v17, vcc_lo
	s_delay_alu instid0(VALU_DEP_2) | instskip(NEXT) | instid1(VALU_DEP_2)
	v_add_co_u32 v8, vcc_lo, v12, v8
	v_add_co_ci_u32_e32 v12, vcc_lo, 0, v13, vcc_lo
	s_delay_alu instid0(VALU_DEP_2) | instskip(NEXT) | instid1(VALU_DEP_2)
	v_add_co_u32 v3, vcc_lo, v3, v8
	v_add_co_ci_u32_e32 v4, vcc_lo, v4, v12, vcc_lo
	s_delay_alu instid0(VALU_DEP_2) | instskip(SKIP_1) | instid1(VALU_DEP_3)
	v_mul_hi_u32 v8, s2, v3
	v_mul_lo_u32 v13, s26, v3
	v_mul_lo_u32 v12, s2, v4
	s_delay_alu instid0(VALU_DEP_1) | instskip(SKIP_1) | instid1(VALU_DEP_2)
	v_add_nc_u32_e32 v8, v8, v12
	v_mul_lo_u32 v12, s2, v3
	v_add_nc_u32_e32 v8, v8, v13
	s_delay_alu instid0(VALU_DEP_2) | instskip(NEXT) | instid1(VALU_DEP_2)
	v_mul_hi_u32 v13, v3, v12
	v_mul_lo_u32 v14, v3, v8
	v_mul_hi_u32 v15, v3, v8
	v_mul_hi_u32 v16, v4, v12
	v_mul_lo_u32 v12, v4, v12
	v_mul_hi_u32 v17, v4, v8
	v_mul_lo_u32 v8, v4, v8
	v_add_co_u32 v13, vcc_lo, v13, v14
	v_add_co_ci_u32_e32 v14, vcc_lo, 0, v15, vcc_lo
	s_delay_alu instid0(VALU_DEP_2) | instskip(NEXT) | instid1(VALU_DEP_2)
	v_add_co_u32 v12, vcc_lo, v13, v12
	v_add_co_ci_u32_e32 v12, vcc_lo, v14, v16, vcc_lo
	v_add_co_ci_u32_e32 v13, vcc_lo, 0, v17, vcc_lo
	s_delay_alu instid0(VALU_DEP_2) | instskip(NEXT) | instid1(VALU_DEP_2)
	v_add_co_u32 v8, vcc_lo, v12, v8
	v_add_co_ci_u32_e32 v12, vcc_lo, 0, v13, vcc_lo
	s_delay_alu instid0(VALU_DEP_2) | instskip(NEXT) | instid1(VALU_DEP_2)
	v_add_co_u32 v8, vcc_lo, v3, v8
	v_add_co_ci_u32_e32 v16, vcc_lo, v4, v12, vcc_lo
	s_delay_alu instid0(VALU_DEP_2) | instskip(SKIP_1) | instid1(VALU_DEP_3)
	v_mul_hi_u32 v17, v9, v8
	v_mad_u64_u32 v[12:13], null, v10, v8, 0
	v_mad_u64_u32 v[3:4], null, v9, v16, 0
	;; [unrolled: 1-line block ×3, first 2 shown]
	s_delay_alu instid0(VALU_DEP_2) | instskip(NEXT) | instid1(VALU_DEP_3)
	v_add_co_u32 v3, vcc_lo, v17, v3
	v_add_co_ci_u32_e32 v4, vcc_lo, 0, v4, vcc_lo
	s_delay_alu instid0(VALU_DEP_2) | instskip(NEXT) | instid1(VALU_DEP_2)
	v_add_co_u32 v3, vcc_lo, v3, v12
	v_add_co_ci_u32_e32 v3, vcc_lo, v4, v13, vcc_lo
	v_add_co_ci_u32_e32 v4, vcc_lo, 0, v15, vcc_lo
	s_delay_alu instid0(VALU_DEP_2) | instskip(NEXT) | instid1(VALU_DEP_2)
	v_add_co_u32 v8, vcc_lo, v3, v14
	v_add_co_ci_u32_e32 v12, vcc_lo, 0, v4, vcc_lo
	s_delay_alu instid0(VALU_DEP_2) | instskip(SKIP_1) | instid1(VALU_DEP_3)
	v_mul_lo_u32 v13, s25, v8
	v_mad_u64_u32 v[3:4], null, s24, v8, 0
	v_mul_lo_u32 v14, s24, v12
	s_delay_alu instid0(VALU_DEP_2) | instskip(NEXT) | instid1(VALU_DEP_2)
	v_sub_co_u32 v3, vcc_lo, v9, v3
	v_add3_u32 v4, v4, v14, v13
	s_delay_alu instid0(VALU_DEP_1) | instskip(NEXT) | instid1(VALU_DEP_1)
	v_sub_nc_u32_e32 v13, v10, v4
	v_subrev_co_ci_u32_e64 v13, s2, s25, v13, vcc_lo
	v_add_co_u32 v14, s2, v8, 2
	s_delay_alu instid0(VALU_DEP_1) | instskip(SKIP_3) | instid1(VALU_DEP_3)
	v_add_co_ci_u32_e64 v15, s2, 0, v12, s2
	v_sub_co_u32 v16, s2, v3, s24
	v_sub_co_ci_u32_e32 v4, vcc_lo, v10, v4, vcc_lo
	v_subrev_co_ci_u32_e64 v13, s2, 0, v13, s2
	v_cmp_le_u32_e32 vcc_lo, s24, v16
	s_delay_alu instid0(VALU_DEP_3) | instskip(SKIP_1) | instid1(VALU_DEP_4)
	v_cmp_eq_u32_e64 s2, s25, v4
	v_cndmask_b32_e64 v16, 0, -1, vcc_lo
	v_cmp_le_u32_e32 vcc_lo, s25, v13
	v_cndmask_b32_e64 v17, 0, -1, vcc_lo
	v_cmp_le_u32_e32 vcc_lo, s24, v3
	;; [unrolled: 2-line block ×3, first 2 shown]
	v_cndmask_b32_e64 v18, 0, -1, vcc_lo
	v_cmp_eq_u32_e32 vcc_lo, s25, v13
	s_delay_alu instid0(VALU_DEP_2) | instskip(SKIP_3) | instid1(VALU_DEP_3)
	v_cndmask_b32_e64 v3, v18, v3, s2
	v_cndmask_b32_e32 v13, v17, v16, vcc_lo
	v_add_co_u32 v16, vcc_lo, v8, 1
	v_add_co_ci_u32_e32 v17, vcc_lo, 0, v12, vcc_lo
	v_cmp_ne_u32_e32 vcc_lo, 0, v13
	s_delay_alu instid0(VALU_DEP_2) | instskip(SKIP_1) | instid1(VALU_DEP_2)
	v_dual_cndmask_b32 v4, v17, v15 :: v_dual_cndmask_b32 v13, v16, v14
	v_cmp_ne_u32_e32 vcc_lo, 0, v3
	v_cndmask_b32_e32 v4, v12, v4, vcc_lo
	s_delay_alu instid0(VALU_DEP_3)
	v_cndmask_b32_e32 v3, v8, v13, vcc_lo
.LBB0_4:                                ;   in Loop: Header=BB0_2 Depth=1
	s_and_not1_saveexec_b32 s2, s3
	s_cbranch_execz .LBB0_6
; %bb.5:                                ;   in Loop: Header=BB0_2 Depth=1
	v_cvt_f32_u32_e32 v3, s24
	s_sub_i32 s3, 0, s24
	s_delay_alu instid0(VALU_DEP_1) | instskip(SKIP_2) | instid1(VALU_DEP_1)
	v_rcp_iflag_f32_e32 v3, v3
	s_waitcnt_depctr 0xfff
	v_mul_f32_e32 v3, 0x4f7ffffe, v3
	v_cvt_u32_f32_e32 v3, v3
	s_delay_alu instid0(VALU_DEP_1) | instskip(NEXT) | instid1(VALU_DEP_1)
	v_mul_lo_u32 v4, s3, v3
	v_mul_hi_u32 v4, v3, v4
	s_delay_alu instid0(VALU_DEP_1) | instskip(NEXT) | instid1(VALU_DEP_1)
	v_add_nc_u32_e32 v3, v3, v4
	v_mul_hi_u32 v3, v9, v3
	s_delay_alu instid0(VALU_DEP_1) | instskip(SKIP_1) | instid1(VALU_DEP_2)
	v_mul_lo_u32 v4, v3, s24
	v_add_nc_u32_e32 v8, 1, v3
	v_sub_nc_u32_e32 v4, v9, v4
	s_delay_alu instid0(VALU_DEP_1) | instskip(SKIP_1) | instid1(VALU_DEP_2)
	v_subrev_nc_u32_e32 v12, s24, v4
	v_cmp_le_u32_e32 vcc_lo, s24, v4
	v_cndmask_b32_e32 v4, v4, v12, vcc_lo
	v_cndmask_b32_e32 v3, v3, v8, vcc_lo
	s_delay_alu instid0(VALU_DEP_2) | instskip(NEXT) | instid1(VALU_DEP_2)
	v_cmp_le_u32_e32 vcc_lo, s24, v4
	v_add_nc_u32_e32 v8, 1, v3
	v_mov_b32_e32 v4, v7
	s_delay_alu instid0(VALU_DEP_2)
	v_cndmask_b32_e32 v3, v3, v8, vcc_lo
.LBB0_6:                                ;   in Loop: Header=BB0_2 Depth=1
	s_or_b32 exec_lo, exec_lo, s2
	s_delay_alu instid0(VALU_DEP_2) | instskip(NEXT) | instid1(VALU_DEP_2)
	v_mul_lo_u32 v8, v4, s24
	v_mul_lo_u32 v14, v3, s25
	s_load_b64 s[2:3], s[14:15], 0x0
	v_mad_u64_u32 v[12:13], null, v3, s24, 0
	s_load_b64 s[24:25], s[12:13], 0x0
	s_add_u32 s22, s22, 1
	s_addc_u32 s23, s23, 0
	s_add_u32 s12, s12, 8
	s_addc_u32 s13, s13, 0
	s_add_u32 s14, s14, 8
	s_delay_alu instid0(VALU_DEP_1) | instskip(SKIP_3) | instid1(VALU_DEP_2)
	v_add3_u32 v8, v13, v14, v8
	v_sub_co_u32 v14, vcc_lo, v9, v12
	s_addc_u32 s15, s15, 0
	s_add_u32 s20, s20, 8
	v_sub_co_ci_u32_e32 v10, vcc_lo, v10, v8, vcc_lo
	s_addc_u32 s21, s21, 0
	s_waitcnt lgkmcnt(0)
	s_delay_alu instid0(VALU_DEP_1)
	v_mul_lo_u32 v15, s2, v10
	v_mul_lo_u32 v16, s3, v14
	v_mad_u64_u32 v[8:9], null, s2, v14, v[5:6]
	v_mul_lo_u32 v10, s24, v10
	v_mul_lo_u32 v17, s25, v14
	v_mad_u64_u32 v[12:13], null, s24, v14, v[1:2]
	v_cmp_ge_u64_e64 s2, s[22:23], s[10:11]
	v_add3_u32 v6, v16, v9, v15
	v_mov_b32_e32 v5, v8
	s_delay_alu instid0(VALU_DEP_4)
	v_add3_u32 v2, v17, v13, v10
	v_mov_b32_e32 v1, v12
	s_and_b32 vcc_lo, exec_lo, s2
	s_cbranch_vccnz .LBB0_9
; %bb.7:                                ;   in Loop: Header=BB0_2 Depth=1
	v_dual_mov_b32 v10, v4 :: v_dual_mov_b32 v9, v3
	s_branch .LBB0_2
.LBB0_8:
	v_dual_mov_b32 v1, v5 :: v_dual_mov_b32 v2, v6
	v_dual_mov_b32 v3, v9 :: v_dual_mov_b32 v4, v10
.LBB0_9:
	s_load_b64 s[0:1], s[0:1], 0x28
	v_mul_hi_u32 v8, 0x295fad5, v0
	s_lshl_b64 s[10:11], s[10:11], 3
                                        ; implicit-def: $sgpr12_sgpr13
                                        ; implicit-def: $vgpr32
	s_delay_alu instid0(SALU_CYCLE_1) | instskip(SKIP_4) | instid1(VALU_DEP_1)
	s_add_u32 s2, s18, s10
	s_addc_u32 s3, s19, s11
	s_waitcnt lgkmcnt(0)
	v_cmp_gt_u64_e32 vcc_lo, s[0:1], v[3:4]
	v_cmp_le_u64_e64 s0, s[0:1], v[3:4]
	s_and_saveexec_b32 s1, s0
	s_delay_alu instid0(SALU_CYCLE_1)
	s_xor_b32 s0, exec_lo, s1
; %bb.10:
	v_mul_u32_u24_e32 v5, 0x63, v8
	s_mov_b64 s[12:13], 0
                                        ; implicit-def: $vgpr8
	s_delay_alu instid0(VALU_DEP_1)
	v_sub_nc_u32_e32 v32, v0, v5
                                        ; implicit-def: $vgpr0
                                        ; implicit-def: $vgpr5_vgpr6
; %bb.11:
	s_or_saveexec_b32 s1, s0
	v_dual_mov_b32 v25, s13 :: v_dual_mov_b32 v24, s12
	v_dual_mov_b32 v27, s13 :: v_dual_mov_b32 v26, s12
	;; [unrolled: 1-line block ×4, first 2 shown]
                                        ; implicit-def: $vgpr7
                                        ; implicit-def: $vgpr17
                                        ; implicit-def: $vgpr31
                                        ; implicit-def: $vgpr29
                                        ; implicit-def: $vgpr23
	s_xor_b32 exec_lo, exec_lo, s1
	s_cbranch_execz .LBB0_13
; %bb.12:
	s_add_u32 s10, s16, s10
	s_addc_u32 s11, s17, s11
	v_lshlrev_b64 v[5:6], 3, v[5:6]
	s_load_b64 s[10:11], s[10:11], 0x0
	s_waitcnt lgkmcnt(0)
	v_mul_lo_u32 v7, s11, v3
	v_mul_lo_u32 v12, s10, v4
	v_mad_u64_u32 v[9:10], null, s10, v3, 0
	s_delay_alu instid0(VALU_DEP_1) | instskip(SKIP_1) | instid1(VALU_DEP_2)
	v_add3_u32 v10, v10, v12, v7
	v_mul_u32_u24_e32 v12, 0x63, v8
	v_lshlrev_b64 v[7:8], 3, v[9:10]
	s_delay_alu instid0(VALU_DEP_2) | instskip(NEXT) | instid1(VALU_DEP_2)
	v_sub_nc_u32_e32 v32, v0, v12
	v_add_co_u32 v0, s0, s4, v7
	s_delay_alu instid0(VALU_DEP_1) | instskip(NEXT) | instid1(VALU_DEP_3)
	v_add_co_ci_u32_e64 v7, s0, s5, v8, s0
	v_lshlrev_b32_e32 v8, 3, v32
	s_delay_alu instid0(VALU_DEP_3) | instskip(NEXT) | instid1(VALU_DEP_1)
	v_add_co_u32 v0, s0, v0, v5
	v_add_co_ci_u32_e64 v5, s0, v7, v6, s0
	s_delay_alu instid0(VALU_DEP_2) | instskip(NEXT) | instid1(VALU_DEP_1)
	v_add_co_u32 v8, s0, v0, v8
	v_add_co_ci_u32_e64 v9, s0, 0, v5, s0
	s_delay_alu instid0(VALU_DEP_2) | instskip(NEXT) | instid1(VALU_DEP_1)
	v_add_co_u32 v12, s0, 0x1000, v8
	v_add_co_ci_u32_e64 v13, s0, 0, v9, s0
	s_clause 0x8
	global_load_b64 v[6:7], v[8:9], off
	global_load_b64 v[24:25], v[8:9], off offset:792
	global_load_b64 v[26:27], v[8:9], off offset:1584
	global_load_b64 v[20:21], v[8:9], off offset:2376
	global_load_b64 v[18:19], v[8:9], off offset:3168
	global_load_b64 v[16:17], v[8:9], off offset:3960
	global_load_b64 v[22:23], v[12:13], off offset:656
	global_load_b64 v[28:29], v[12:13], off offset:1448
	global_load_b64 v[30:31], v[12:13], off offset:2240
.LBB0_13:
	s_or_b32 exec_lo, exec_lo, s1
	s_waitcnt vmcnt(1)
	v_dual_sub_f32 v0, v27, v29 :: v_dual_add_f32 v9, v28, v26
	s_waitcnt vmcnt(0)
	v_dual_add_f32 v8, v30, v24 :: v_dual_and_b32 v5, 1, v11
	v_dual_sub_f32 v10, v25, v31 :: v_dual_add_f32 v11, v22, v20
	s_delay_alu instid0(VALU_DEP_3) | instskip(NEXT) | instid1(VALU_DEP_3)
	v_dual_mul_f32 v14, 0x3f7c1c5c, v0 :: v_dual_sub_f32 v13, v21, v23
	v_add_f32_e32 v12, v8, v9
	s_delay_alu instid0(VALU_DEP_4) | instskip(NEXT) | instid1(VALU_DEP_3)
	v_cmp_eq_u32_e64 s0, 1, v5
	v_dual_sub_f32 v15, v19, v17 :: v_dual_fmac_f32 v14, 0x3f248dbb, v10
	s_load_b64 s[2:3], s[2:3], 0x0
	s_delay_alu instid0(VALU_DEP_3) | instskip(NEXT) | instid1(VALU_DEP_3)
	v_add_f32_e32 v34, v12, v11
	v_cndmask_b32_e64 v36, 0, 0x37b, s0
	s_delay_alu instid0(VALU_DEP_3) | instskip(SKIP_1) | instid1(VALU_DEP_4)
	v_dual_add_f32 v35, v16, v18 :: v_dual_fmac_f32 v14, 0x3f5db3d7, v13
	v_mul_f32_e32 v39, 0x3f7c1c5c, v15
	v_dual_add_f32 v5, v34, v18 :: v_dual_mul_f32 v38, 0xbf248dbb, v15
	s_delay_alu instid0(VALU_DEP_3) | instskip(SKIP_1) | instid1(VALU_DEP_4)
	v_fmamk_f32 v37, v35, 0x3f441b7d, v6
	v_cmp_gt_u32_e64 s0, 0x51, v32
	v_fma_f32 v39, 0xbf248dbb, v0, -v39
	s_delay_alu instid0(VALU_DEP_4) | instskip(SKIP_2) | instid1(VALU_DEP_3)
	v_add_f32_e32 v34, v16, v5
	v_fmamk_f32 v33, v8, 0x3f441b7d, v6
	v_add_f32_e32 v5, v6, v11
	v_add_f32_e32 v34, v6, v34
	v_fmac_f32_e32 v6, 0x3f441b7d, v9
	s_delay_alu instid0(VALU_DEP_4) | instskip(NEXT) | instid1(VALU_DEP_2)
	v_fmac_f32_e32 v33, 0x3e31d0d4, v9
	v_dual_fmac_f32 v37, 0x3e31d0d4, v8 :: v_dual_fmac_f32 v6, 0x3e31d0d4, v35
	s_delay_alu instid0(VALU_DEP_2) | instskip(SKIP_1) | instid1(VALU_DEP_3)
	v_fmac_f32_e32 v33, -0.5, v11
	v_fmac_f32_e32 v39, 0x3f5db3d7, v13
	v_fmac_f32_e32 v37, -0.5, v11
	s_delay_alu instid0(VALU_DEP_4) | instskip(NEXT) | instid1(VALU_DEP_3)
	v_fmac_f32_e32 v6, -0.5, v11
	v_dual_fmac_f32 v14, 0x3eaf1d44, v15 :: v_dual_fmac_f32 v39, 0x3eaf1d44, v10
	v_fmac_f32_e32 v33, 0xbf708fb2, v35
	s_delay_alu instid0(VALU_DEP_3) | instskip(SKIP_1) | instid1(VALU_DEP_3)
	v_dual_add_f32 v11, v12, v35 :: v_dual_fmac_f32 v6, 0xbf708fb2, v8
	v_mad_u32_u24 v35, v32, 36, 0
	v_dual_add_f32 v15, v10, v15 :: v_dual_sub_f32 v8, v33, v14
	v_dual_fmac_f32 v38, 0x3f7c1c5c, v10 :: v_dual_lshlrev_b32 v33, 2, v32
	s_delay_alu instid0(VALU_DEP_4) | instskip(NEXT) | instid1(VALU_DEP_2)
	v_dual_fmac_f32 v37, 0xbf708fb2, v9 :: v_dual_sub_f32 v6, v6, v39
	v_dual_fmac_f32 v5, -0.5, v11 :: v_dual_fmac_f32 v38, 0xbf5db3d7, v13
	s_delay_alu instid0(VALU_DEP_2) | instskip(NEXT) | instid1(VALU_DEP_2)
	v_fma_f32 v12, 2.0, v39, v6
	v_fmac_f32_e32 v38, 0x3eaf1d44, v0
	v_sub_f32_e32 v0, v15, v0
                                        ; implicit-def: $vgpr15
	s_delay_alu instid0(VALU_DEP_2) | instskip(NEXT) | instid1(VALU_DEP_2)
	v_sub_f32_e32 v9, v37, v38
	v_mul_f32_e32 v11, 0x3f5db3d7, v0
	v_fmac_f32_e32 v5, 0xbf5db3d7, v0
	v_lshl_add_u32 v37, v36, 2, v35
	v_lshlrev_b32_e32 v0, 2, v36
	v_fma_f32 v10, 2.0, v38, v9
	v_lshlrev_b32_e32 v36, 5, v32
	v_fma_f32 v13, 2.0, v11, v5
	v_fma_f32 v11, 2.0, v14, v8
	ds_store_2addr_b32 v37, v34, v8 offset1:1
	ds_store_2addr_b32 v37, v9, v5 offset0:2 offset1:3
	ds_store_2addr_b32 v37, v6, v12 offset0:4 offset1:5
	;; [unrolled: 1-line block ×3, first 2 shown]
	ds_store_b32 v37, v11 offset:32
	s_waitcnt lgkmcnt(0)
	s_barrier
	buffer_gl0_inv
	s_and_saveexec_b32 s1, s0
	s_cbranch_execz .LBB0_15
; %bb.14:
	v_sub_nc_u32_e32 v5, v35, v36
	v_add3_u32 v6, 0, v0, v33
	s_delay_alu instid0(VALU_DEP_2)
	v_add_nc_u32_e32 v5, v5, v0
	ds_load_b32 v34, v6
	v_add_nc_u32_e32 v6, 0x200, v5
	v_add_nc_u32_e32 v10, 0x400, v5
	;; [unrolled: 1-line block ×4, first 2 shown]
	ds_load_2addr_b32 v[8:9], v5 offset0:81 offset1:162
	ds_load_2addr_b32 v[5:6], v6 offset0:115 offset1:196
	;; [unrolled: 1-line block ×5, first 2 shown]
.LBB0_15:
	s_or_b32 exec_lo, exec_lo, s1
	v_add_f32_e32 v25, v31, v25
	v_dual_add_f32 v27, v29, v27 :: v_dual_sub_f32 v20, v20, v22
	v_add_f32_e32 v21, v23, v21
	v_dual_sub_f32 v23, v24, v30 :: v_dual_sub_f32 v18, v18, v16
	v_sub_f32_e32 v24, v26, v28
	s_delay_alu instid0(VALU_DEP_4) | instskip(SKIP_3) | instid1(VALU_DEP_3)
	v_add_f32_e32 v28, v25, v27
	v_add_f32_e32 v22, v17, v19
	s_waitcnt lgkmcnt(0)
	v_mul_f32_e32 v31, 0xbf248dbb, v18
	v_dual_mul_f32 v29, 0x3f7c1c5c, v24 :: v_dual_add_f32 v16, v28, v21
	v_fmamk_f32 v30, v25, 0x3f441b7d, v7
	s_barrier
	buffer_gl0_inv
	v_fmac_f32_e32 v29, 0x3f248dbb, v23
	v_dual_add_f32 v19, v16, v19 :: v_dual_add_f32 v16, v7, v21
	s_delay_alu instid0(VALU_DEP_1) | instskip(NEXT) | instid1(VALU_DEP_3)
	v_dual_fmamk_f32 v38, v22, 0x3f441b7d, v7 :: v_dual_add_f32 v17, v17, v19
	v_fmac_f32_e32 v29, 0x3f5db3d7, v20
	s_delay_alu instid0(VALU_DEP_2) | instskip(NEXT) | instid1(VALU_DEP_3)
	v_fmac_f32_e32 v38, 0x3e31d0d4, v25
	v_add_f32_e32 v26, v7, v17
	v_add_f32_e32 v17, v23, v18
	s_delay_alu instid0(VALU_DEP_3) | instskip(SKIP_3) | instid1(VALU_DEP_4)
	v_dual_mul_f32 v19, 0x3f7c1c5c, v18 :: v_dual_fmac_f32 v38, -0.5, v21
	v_fmac_f32_e32 v7, 0x3f441b7d, v27
	v_fmac_f32_e32 v30, 0x3e31d0d4, v27
	;; [unrolled: 1-line block ×3, first 2 shown]
	v_fma_f32 v39, 0xbf248dbb, v24, -v19
	v_add_f32_e32 v18, v28, v22
	v_fmac_f32_e32 v7, 0x3e31d0d4, v22
	v_dual_fmac_f32 v31, 0x3f7c1c5c, v23 :: v_dual_fmac_f32 v30, -0.5, v21
	v_dual_sub_f32 v17, v17, v24 :: v_dual_fmac_f32 v38, 0xbf708fb2, v27
	v_fmac_f32_e32 v39, 0x3f5db3d7, v20
	s_delay_alu instid0(VALU_DEP_3) | instskip(NEXT) | instid1(VALU_DEP_4)
	v_fmac_f32_e32 v31, 0xbf5db3d7, v20
	v_dual_fmac_f32 v30, 0xbf708fb2, v22 :: v_dual_fmac_f32 v7, -0.5, v21
	v_fmac_f32_e32 v16, -0.5, v18
	v_mul_f32_e32 v18, 0x3f5db3d7, v17
	s_delay_alu instid0(VALU_DEP_3) | instskip(SKIP_2) | instid1(VALU_DEP_3)
	v_dual_fmac_f32 v31, 0x3eaf1d44, v24 :: v_dual_add_f32 v22, v29, v30
	v_fmac_f32_e32 v39, 0x3eaf1d44, v23
	v_fmac_f32_e32 v7, 0xbf708fb2, v25
	v_dual_fmac_f32 v16, 0x3f5db3d7, v17 :: v_dual_add_f32 v23, v31, v38
	s_delay_alu instid0(VALU_DEP_4) | instskip(NEXT) | instid1(VALU_DEP_3)
	v_fma_f32 v19, -2.0, v29, v22
                                        ; implicit-def: $vgpr25
	v_add_f32_e32 v17, v39, v7
	s_delay_alu instid0(VALU_DEP_3) | instskip(NEXT) | instid1(VALU_DEP_4)
	v_fma_f32 v21, -2.0, v18, v16
	v_fma_f32 v18, -2.0, v31, v23
	s_delay_alu instid0(VALU_DEP_3)
	v_fma_f32 v20, -2.0, v39, v17
	ds_store_2addr_b32 v37, v26, v22 offset1:1
	ds_store_2addr_b32 v37, v23, v16 offset0:2 offset1:3
	ds_store_2addr_b32 v37, v17, v20 offset0:4 offset1:5
	;; [unrolled: 1-line block ×3, first 2 shown]
	ds_store_b32 v37, v19 offset:32
	s_waitcnt lgkmcnt(0)
	s_barrier
	buffer_gl0_inv
	s_and_saveexec_b32 s1, s0
	s_cbranch_execz .LBB0_17
; %bb.16:
	v_sub_nc_u32_e32 v7, v35, v36
	v_add3_u32 v16, 0, v0, v33
	s_delay_alu instid0(VALU_DEP_2)
	v_add_nc_u32_e32 v7, v7, v0
	ds_load_b32 v26, v16
	v_add_nc_u32_e32 v16, 0x200, v7
	v_add_nc_u32_e32 v18, 0x400, v7
	;; [unrolled: 1-line block ×4, first 2 shown]
	ds_load_2addr_b32 v[22:23], v7 offset0:81 offset1:162
	ds_load_2addr_b32 v[16:17], v16 offset0:115 offset1:196
	;; [unrolled: 1-line block ×5, first 2 shown]
.LBB0_17:
	s_or_b32 exec_lo, exec_lo, s1
	v_and_b32_e32 v7, 0xff, v32
	s_delay_alu instid0(VALU_DEP_1) | instskip(NEXT) | instid1(VALU_DEP_1)
	v_mul_lo_u16 v7, v7, 57
	v_lshrrev_b16 v7, 9, v7
	s_delay_alu instid0(VALU_DEP_1) | instskip(NEXT) | instid1(VALU_DEP_1)
	v_mul_lo_u16 v27, v7, 9
	v_sub_nc_u16 v27, v32, v27
	s_delay_alu instid0(VALU_DEP_1) | instskip(NEXT) | instid1(VALU_DEP_1)
	v_and_b32_e32 v65, 0xff, v27
	v_mul_u32_u24_e32 v27, 10, v65
	s_delay_alu instid0(VALU_DEP_1)
	v_lshlrev_b32_e32 v27, 3, v27
	s_clause 0x4
	global_load_b128 v[45:48], v27, s[8:9]
	global_load_b128 v[49:52], v27, s[8:9] offset:16
	global_load_b128 v[53:56], v27, s[8:9] offset:32
	;; [unrolled: 1-line block ×4, first 2 shown]
	v_and_b32_e32 v7, 0xffff, v7
	s_waitcnt vmcnt(0) lgkmcnt(0)
	s_barrier
	buffer_gl0_inv
	v_mul_f32_e32 v43, v22, v46
	v_dual_mul_f32 v31, v8, v46 :: v_dual_mul_f32 v40, v23, v48
	v_mul_f32_e32 v36, v19, v60
	v_dual_mul_f32 v37, v9, v48 :: v_dual_mul_f32 v30, v18, v58
	v_mul_f32_e32 v35, v16, v50
	v_mul_f32_e32 v38, v5, v50
	v_dual_mul_f32 v29, v17, v52 :: v_dual_mul_f32 v50, v10, v58
	v_dual_mul_f32 v39, v6, v52 :: v_dual_fmac_f32 v40, v9, v47
	v_dual_mul_f32 v27, v20, v54 :: v_dual_mul_f32 v44, v25, v64
	v_mul_f32_e32 v46, v12, v54
	v_mul_f32_e32 v28, v21, v56
	;; [unrolled: 1-line block ×3, first 2 shown]
	v_dual_mul_f32 v52, v11, v60 :: v_dual_mul_f32 v41, v24, v62
	v_mul_f32_e32 v56, v15, v64
	v_dual_mul_f32 v54, v14, v62 :: v_dual_fmac_f32 v43, v8, v45
	v_fma_f32 v45, v22, v45, -v31
	v_fma_f32 v42, v23, v47, -v37
	v_dual_fmac_f32 v35, v5, v49 :: v_dual_fmac_f32 v36, v11, v59
	v_fma_f32 v37, v16, v49, -v38
	v_dual_fmac_f32 v29, v6, v51 :: v_dual_lshlrev_b32 v8, 2, v65
	v_fma_f32 v23, v17, v51, -v39
	v_dual_fmac_f32 v27, v12, v53 :: v_dual_fmac_f32 v28, v13, v55
	v_fma_f32 v16, v20, v53, -v46
	v_fma_f32 v20, v21, v55, -v48
	v_fmac_f32_e32 v30, v10, v57
	v_fma_f32 v31, v18, v57, -v50
	v_fma_f32 v38, v19, v59, -v52
	v_dual_fmac_f32 v41, v14, v61 :: v_dual_fmac_f32 v44, v15, v63
	v_fma_f32 v39, v24, v61, -v54
	v_fma_f32 v15, v25, v63, -v56
	s_and_saveexec_b32 s1, s0
	s_cbranch_execz .LBB0_19
; %bb.18:
	s_delay_alu instid0(VALU_DEP_1) | instskip(SKIP_1) | instid1(VALU_DEP_2)
	v_dual_sub_f32 v5, v45, v15 :: v_dual_add_f32 v6, v43, v44
	v_dual_add_f32 v9, v40, v41 :: v_dual_sub_f32 v10, v42, v39
	v_dual_add_f32 v11, v35, v36 :: v_dual_mul_f32 v12, 0xbe903f40, v5
	v_dual_sub_f32 v13, v37, v38 :: v_dual_sub_f32 v22, v16, v20
	s_delay_alu instid0(VALU_DEP_3) | instskip(NEXT) | instid1(VALU_DEP_3)
	v_dual_mul_f32 v18, 0x3f0a6770, v10 :: v_dual_add_f32 v21, v27, v28
	v_fma_f32 v19, 0xbf75a155, v6, -v12
	v_dual_add_f32 v14, v29, v30 :: v_dual_sub_f32 v17, v23, v31
	s_delay_alu instid0(VALU_DEP_4) | instskip(NEXT) | instid1(VALU_DEP_4)
	v_mul_f32_e32 v24, 0xbf4178ce, v13
	v_fma_f32 v25, 0x3f575c64, v9, -v18
	s_delay_alu instid0(VALU_DEP_4) | instskip(NEXT) | instid1(VALU_DEP_4)
	v_dual_add_f32 v19, v34, v19 :: v_dual_mul_f32 v52, 0xbf4178ce, v22
	v_mul_f32_e32 v46, 0x3f68dda4, v17
	s_delay_alu instid0(VALU_DEP_4) | instskip(SKIP_1) | instid1(VALU_DEP_4)
	v_fma_f32 v49, 0xbf27a4f4, v11, -v24
	v_mul_f32_e32 v55, 0x3f0a6770, v22
	v_dual_add_f32 v19, v25, v19 :: v_dual_mul_f32 v48, 0xbf4178ce, v5
	s_delay_alu instid0(VALU_DEP_4) | instskip(SKIP_1) | instid1(VALU_DEP_3)
	v_fma_f32 v50, 0x3ed4b147, v14, -v46
	v_fma_f32 v53, 0xbf27a4f4, v21, -v52
	v_dual_fmac_f32 v52, 0xbf27a4f4, v21 :: v_dual_add_f32 v19, v49, v19
	v_fmac_f32_e32 v12, 0xbf75a155, v6
	v_fma_f32 v51, 0xbf27a4f4, v6, -v48
	v_fmac_f32_e32 v18, 0x3f575c64, v9
	s_delay_alu instid0(VALU_DEP_4) | instskip(NEXT) | instid1(VALU_DEP_4)
	v_dual_fmac_f32 v48, 0xbf27a4f4, v6 :: v_dual_add_f32 v19, v50, v19
	v_dual_mul_f32 v47, 0xbf7d64f0, v22 :: v_dual_add_f32 v12, v34, v12
	s_delay_alu instid0(VALU_DEP_4) | instskip(SKIP_1) | instid1(VALU_DEP_3)
	v_add_f32_e32 v51, v34, v51
	v_mul_f32_e32 v25, 0x3f7d64f0, v10
	v_fma_f32 v49, 0xbe11bafb, v21, -v47
	s_delay_alu instid0(VALU_DEP_4) | instskip(SKIP_1) | instid1(VALU_DEP_4)
	v_add_f32_e32 v12, v18, v12
	v_mul_f32_e32 v18, 0xbf0a6770, v13
	v_fma_f32 v50, 0xbe11bafb, v9, -v25
	v_fmac_f32_e32 v47, 0xbe11bafb, v21
	v_add_f32_e32 v19, v49, v19
	s_delay_alu instid0(VALU_DEP_4) | instskip(SKIP_3) | instid1(VALU_DEP_2)
	v_fma_f32 v49, 0x3f575c64, v11, -v18
	v_fmac_f32_e32 v25, 0xbe11bafb, v9
	v_fmac_f32_e32 v24, 0xbf27a4f4, v11
	;; [unrolled: 1-line block ×3, first 2 shown]
	v_add_f32_e32 v12, v24, v12
	v_add_f32_e32 v24, v50, v51
	v_mul_f32_e32 v50, 0xbe903f40, v17
	s_delay_alu instid0(VALU_DEP_2) | instskip(SKIP_1) | instid1(VALU_DEP_1)
	v_dual_add_f32 v24, v49, v24 :: v_dual_mul_f32 v49, 0x3f68dda4, v22
	v_fmac_f32_e32 v46, 0x3ed4b147, v14
	v_add_f32_e32 v12, v46, v12
	v_add_f32_e32 v46, v34, v48
	v_fma_f32 v48, 0xbf75a155, v14, -v50
	s_delay_alu instid0(VALU_DEP_2) | instskip(SKIP_2) | instid1(VALU_DEP_3)
	v_add_f32_e32 v25, v25, v46
	v_fma_f32 v46, 0x3ed4b147, v21, -v49
	v_fmac_f32_e32 v49, 0x3ed4b147, v21
	v_dual_add_f32 v18, v18, v25 :: v_dual_mul_f32 v25, 0x3e903f40, v10
	v_dual_add_f32 v12, v47, v12 :: v_dual_mul_f32 v47, 0xbf7d64f0, v5
	v_add_f32_e32 v24, v48, v24
	s_delay_alu instid0(VALU_DEP_3) | instskip(NEXT) | instid1(VALU_DEP_2)
	v_fma_f32 v48, 0xbf75a155, v9, -v25
	v_dual_fmac_f32 v25, 0xbf75a155, v9 :: v_dual_add_f32 v24, v46, v24
	s_delay_alu instid0(VALU_DEP_4) | instskip(SKIP_1) | instid1(VALU_DEP_2)
	v_fma_f32 v46, 0xbe11bafb, v6, -v47
	v_fmac_f32_e32 v47, 0xbe11bafb, v6
	v_add_f32_e32 v46, v34, v46
	s_delay_alu instid0(VALU_DEP_1) | instskip(NEXT) | instid1(VALU_DEP_1)
	v_dual_add_f32 v47, v34, v47 :: v_dual_add_f32 v46, v48, v46
	v_dual_add_f32 v25, v25, v47 :: v_dual_fmac_f32 v50, 0xbf75a155, v14
	v_mul_f32_e32 v48, 0xbf68dda4, v5
	s_delay_alu instid0(VALU_DEP_2) | instskip(SKIP_1) | instid1(VALU_DEP_2)
	v_dual_mul_f32 v5, 0xbf0a6770, v5 :: v_dual_add_f32 v18, v50, v18
	v_mul_f32_e32 v50, 0x3f68dda4, v13
	v_dual_add_f32 v18, v49, v18 :: v_dual_mul_f32 v49, 0xbf0a6770, v17
	s_delay_alu instid0(VALU_DEP_2) | instskip(SKIP_1) | instid1(VALU_DEP_3)
	v_fma_f32 v51, 0x3ed4b147, v11, -v50
	v_fmac_f32_e32 v50, 0x3ed4b147, v11
	v_fma_f32 v47, 0x3f575c64, v14, -v49
	v_fmac_f32_e32 v49, 0x3f575c64, v14
	s_delay_alu instid0(VALU_DEP_3) | instskip(SKIP_1) | instid1(VALU_DEP_2)
	v_add_f32_e32 v25, v50, v25
	v_fma_f32 v50, 0x3ed4b147, v6, -v48
	v_dual_add_f32 v46, v51, v46 :: v_dual_add_f32 v25, v49, v25
	s_delay_alu instid0(VALU_DEP_2) | instskip(SKIP_2) | instid1(VALU_DEP_4)
	v_add_f32_e32 v49, v34, v50
	v_fmac_f32_e32 v48, 0x3ed4b147, v6
	v_mul_f32_e32 v51, 0xbf4178ce, v10
	v_dual_mul_f32 v10, 0xbf68dda4, v10 :: v_dual_add_f32 v25, v52, v25
	v_add_f32_e32 v52, v34, v43
	s_delay_alu instid0(VALU_DEP_4) | instskip(NEXT) | instid1(VALU_DEP_4)
	v_add_f32_e32 v48, v34, v48
	v_fma_f32 v50, 0xbf27a4f4, v9, -v51
	v_dual_fmac_f32 v51, 0xbf27a4f4, v9 :: v_dual_add_f32 v46, v47, v46
	s_delay_alu instid0(VALU_DEP_1)
	v_dual_add_f32 v47, v50, v49 :: v_dual_add_f32 v48, v51, v48
	v_add_f32_e32 v51, v52, v40
	v_fma_f32 v52, 0x3f575c64, v6, -v5
	v_fmac_f32_e32 v5, 0x3f575c64, v6
	v_mul_f32_e32 v54, 0x3e903f40, v13
	v_mul_f32_e32 v13, 0xbf7d64f0, v13
	v_dual_add_f32 v51, v51, v35 :: v_dual_mul_f32 v50, 0x3f7d64f0, v17
	s_delay_alu instid0(VALU_DEP_4) | instskip(SKIP_1) | instid1(VALU_DEP_3)
	v_add_f32_e32 v5, v34, v5
	v_mul_f32_e32 v17, 0xbf4178ce, v17
	v_add_f32_e32 v6, v51, v29
	v_fma_f32 v51, 0x3ed4b147, v9, -v10
	v_dual_fmac_f32 v10, 0x3ed4b147, v9 :: v_dual_add_f32 v9, v34, v52
	v_fma_f32 v49, 0xbf75a155, v11, -v54
	v_fmac_f32_e32 v54, 0xbf75a155, v11
	v_fma_f32 v34, 0xbe11bafb, v11, -v13
	s_delay_alu instid0(VALU_DEP_4) | instskip(SKIP_4) | instid1(VALU_DEP_4)
	v_add_f32_e32 v5, v10, v5
	v_fmac_f32_e32 v13, 0xbe11bafb, v11
	v_dual_add_f32 v6, v6, v27 :: v_dual_mul_f32 v11, 0xbe903f40, v22
	v_dual_add_f32 v48, v54, v48 :: v_dual_add_f32 v47, v49, v47
	v_fma_f32 v49, 0xbe11bafb, v14, -v50
	v_dual_fmac_f32 v50, 0xbe11bafb, v14 :: v_dual_add_f32 v5, v13, v5
	v_fma_f32 v10, 0xbf27a4f4, v14, -v17
	v_dual_fmac_f32 v17, 0xbf27a4f4, v14 :: v_dual_add_f32 v6, v6, v28
	v_add_f32_e32 v9, v51, v9
	v_fma_f32 v14, 0xbf75a155, v21, -v11
	v_fmac_f32_e32 v11, 0xbf75a155, v21
	s_delay_alu instid0(VALU_DEP_4)
	v_dual_add_f32 v5, v17, v5 :: v_dual_add_f32 v6, v6, v30
	v_add_f32_e32 v47, v49, v47
	v_fma_f32 v49, 0x3f575c64, v21, -v55
	v_add_f32_e32 v9, v34, v9
	v_mad_u32_u24 v17, 0x18c, v7, 0
	v_dual_add_f32 v6, v6, v36 :: v_dual_fmac_f32 v55, 0x3f575c64, v21
	v_add_f32_e32 v13, v50, v48
	s_delay_alu instid0(VALU_DEP_4) | instskip(NEXT) | instid1(VALU_DEP_4)
	v_add_f32_e32 v9, v10, v9
	v_add3_u32 v10, v17, v8, v0
	s_delay_alu instid0(VALU_DEP_4) | instskip(SKIP_2) | instid1(VALU_DEP_3)
	v_dual_add_f32 v6, v6, v41 :: v_dual_add_f32 v17, v49, v47
	v_add_f32_e32 v5, v11, v5
	v_add_f32_e32 v11, v55, v13
	v_dual_add_f32 v13, v53, v46 :: v_dual_add_f32 v6, v6, v44
	v_add_f32_e32 v9, v14, v9
	ds_store_2addr_b32 v10, v6, v5 offset1:9
	ds_store_2addr_b32 v10, v11, v25 offset0:18 offset1:27
	ds_store_2addr_b32 v10, v18, v12 offset0:36 offset1:45
	;; [unrolled: 1-line block ×4, first 2 shown]
	ds_store_b32 v10, v9 offset:360
.LBB0_19:
	s_or_b32 exec_lo, exec_lo, s1
	v_add3_u32 v18, 0, v33, v0
	v_add3_u32 v17, 0, v0, v33
	s_waitcnt lgkmcnt(0)
	s_barrier
	buffer_gl0_inv
	v_add_nc_u32_e32 v19, 0x400, v18
	v_add_nc_u32_e32 v21, 0x600, v18
	;; [unrolled: 1-line block ×3, first 2 shown]
	ds_load_b32 v24, v17
	ds_load_2addr_b32 v[13:14], v19 offset0:41 offset1:140
	ds_load_2addr_b32 v[9:10], v21 offset0:111 offset1:210
	;; [unrolled: 1-line block ×4, first 2 shown]
	s_waitcnt lgkmcnt(0)
	s_barrier
	buffer_gl0_inv
	s_and_saveexec_b32 s1, s0
	s_cbranch_execz .LBB0_21
; %bb.20:
	v_dual_add_f32 v25, v26, v45 :: v_dual_sub_f32 v34, v43, v44
	v_dual_add_f32 v33, v45, v15 :: v_dual_sub_f32 v40, v40, v41
	v_add_f32_e32 v43, v42, v39
	s_delay_alu instid0(VALU_DEP_3) | instskip(NEXT) | instid1(VALU_DEP_3)
	v_add_f32_e32 v25, v25, v42
	v_dual_sub_f32 v35, v35, v36 :: v_dual_mul_f32 v42, 0x3ed4b147, v33
	v_dual_mul_f32 v44, 0xbe11bafb, v33 :: v_dual_sub_f32 v29, v29, v30
	s_delay_alu instid0(VALU_DEP_3) | instskip(SKIP_1) | instid1(VALU_DEP_3)
	v_dual_add_f32 v25, v25, v37 :: v_dual_mul_f32 v46, 0x3ed4b147, v43
	v_add_f32_e32 v37, v37, v38
	v_fmamk_f32 v51, v34, 0x3f7d64f0, v44
	v_sub_f32_e32 v27, v27, v28
	s_delay_alu instid0(VALU_DEP_4) | instskip(SKIP_3) | instid1(VALU_DEP_4)
	v_dual_add_f32 v25, v25, v23 :: v_dual_fmamk_f32 v50, v34, 0x3f68dda4, v42
	v_fmac_f32_e32 v42, 0xbf68dda4, v34
	v_mul_f32_e32 v41, 0x3f575c64, v33
	v_add_f32_e32 v23, v23, v31
	v_add_f32_e32 v25, v25, v16
	s_delay_alu instid0(VALU_DEP_4) | instskip(SKIP_2) | instid1(VALU_DEP_4)
	v_dual_mul_f32 v45, 0xbf27a4f4, v33 :: v_dual_add_f32 v42, v26, v42
	v_fmac_f32_e32 v44, 0xbf7d64f0, v34
	v_dual_mul_f32 v33, 0xbf75a155, v33 :: v_dual_mul_f32 v48, 0xbf75a155, v43
	v_add_f32_e32 v25, v25, v20
	s_delay_alu instid0(VALU_DEP_3) | instskip(SKIP_1) | instid1(VALU_DEP_3)
	v_dual_mul_f32 v47, 0xbf27a4f4, v43 :: v_dual_add_f32 v44, v26, v44
	v_fmamk_f32 v52, v34, 0x3f4178ce, v45
	v_dual_add_f32 v50, v26, v50 :: v_dual_add_f32 v25, v25, v31
	s_delay_alu instid0(VALU_DEP_3)
	v_fmamk_f32 v54, v40, 0x3f4178ce, v47
	v_fmac_f32_e32 v47, 0xbf4178ce, v40
	v_fmamk_f32 v49, v34, 0x3f0a6770, v41
	v_dual_fmac_f32 v41, 0xbf0a6770, v34 :: v_dual_add_f32 v52, v26, v52
	v_add_f32_e32 v25, v25, v38
	v_fmamk_f32 v53, v34, 0x3e903f40, v33
	v_fmac_f32_e32 v33, 0xbe903f40, v34
	v_fmac_f32_e32 v45, 0xbf4178ce, v34
	v_add_f32_e32 v41, v26, v41
	v_dual_add_f32 v25, v25, v39 :: v_dual_add_f32 v42, v47, v42
	v_dual_fmamk_f32 v34, v40, 0x3f68dda4, v46 :: v_dual_add_f32 v49, v26, v49
	s_delay_alu instid0(VALU_DEP_4) | instskip(NEXT) | instid1(VALU_DEP_3)
	v_dual_fmac_f32 v46, 0xbf68dda4, v40 :: v_dual_add_f32 v39, v26, v45
	v_dual_add_f32 v15, v25, v15 :: v_dual_mul_f32 v36, 0xbe11bafb, v37
	v_mad_u32_u24 v7, 0x18c, v7, 0
	s_delay_alu instid0(VALU_DEP_3) | instskip(SKIP_2) | instid1(VALU_DEP_4)
	v_dual_add_f32 v25, v46, v41 :: v_dual_mul_f32 v46, 0xbe11bafb, v43
	v_dual_add_f32 v51, v26, v51 :: v_dual_add_f32 v16, v16, v20
	v_mul_f32_e32 v30, 0xbf27a4f4, v23
	v_add3_u32 v7, v7, v8, v0
	s_delay_alu instid0(VALU_DEP_4) | instskip(SKIP_3) | instid1(VALU_DEP_3)
	v_fmamk_f32 v38, v40, 0xbf7d64f0, v46
	v_mul_f32_e32 v43, 0x3f575c64, v43
	v_fmac_f32_e32 v46, 0x3f7d64f0, v40
	v_mul_f32_e32 v28, 0xbf75a155, v16
	v_dual_add_f32 v38, v38, v52 :: v_dual_fmamk_f32 v47, v40, 0xbf0a6770, v43
	v_fmac_f32_e32 v43, 0x3f0a6770, v40
	v_add_f32_e32 v45, v26, v53
	v_add_f32_e32 v26, v26, v33
	v_dual_add_f32 v39, v46, v39 :: v_dual_mul_f32 v46, 0xbf75a155, v37
	v_dual_add_f32 v33, v34, v49 :: v_dual_fmamk_f32 v34, v40, 0xbe903f40, v48
	v_fmac_f32_e32 v48, 0x3e903f40, v40
	s_delay_alu instid0(VALU_DEP_4) | instskip(SKIP_4) | instid1(VALU_DEP_3)
	v_add_f32_e32 v26, v43, v26
	v_dual_add_f32 v41, v54, v50 :: v_dual_add_f32 v40, v47, v45
	v_fmamk_f32 v45, v35, 0x3f7d64f0, v36
	v_fmac_f32_e32 v36, 0xbf7d64f0, v35
	v_dual_mul_f32 v43, 0x3ed4b147, v37 :: v_dual_add_f32 v34, v34, v51
	v_dual_add_f32 v44, v48, v44 :: v_dual_add_f32 v33, v45, v33
	v_fmamk_f32 v45, v35, 0xbe903f40, v46
	s_delay_alu instid0(VALU_DEP_4) | instskip(NEXT) | instid1(VALU_DEP_4)
	v_dual_fmac_f32 v46, 0x3e903f40, v35 :: v_dual_add_f32 v25, v36, v25
	v_fmamk_f32 v36, v35, 0xbf68dda4, v43
	v_fmac_f32_e32 v43, 0x3f68dda4, v35
	s_delay_alu instid0(VALU_DEP_4) | instskip(NEXT) | instid1(VALU_DEP_4)
	v_add_f32_e32 v41, v45, v41
	v_dual_mul_f32 v31, 0xbf27a4f4, v37 :: v_dual_add_f32 v42, v46, v42
	s_delay_alu instid0(VALU_DEP_4) | instskip(NEXT) | instid1(VALU_DEP_4)
	v_dual_add_f32 v34, v36, v34 :: v_dual_mul_f32 v45, 0x3f575c64, v37
	v_add_f32_e32 v36, v43, v44
	s_delay_alu instid0(VALU_DEP_3) | instskip(SKIP_1) | instid1(VALU_DEP_4)
	v_fmamk_f32 v43, v35, 0x3f4178ce, v31
	v_fmac_f32_e32 v31, 0xbf4178ce, v35
	v_fmamk_f32 v37, v35, 0x3f0a6770, v45
	s_delay_alu instid0(VALU_DEP_2) | instskip(NEXT) | instid1(VALU_DEP_2)
	v_add_f32_e32 v26, v31, v26
	v_add_f32_e32 v37, v37, v38
	v_fmac_f32_e32 v45, 0xbf0a6770, v35
	v_fmamk_f32 v35, v29, 0x3f4178ce, v30
	v_fmac_f32_e32 v30, 0xbf4178ce, v29
	s_delay_alu instid0(VALU_DEP_2) | instskip(SKIP_2) | instid1(VALU_DEP_4)
	v_dual_add_f32 v38, v45, v39 :: v_dual_add_f32 v31, v35, v33
	v_mul_f32_e32 v33, 0x3f575c64, v23
	v_dual_add_f32 v39, v43, v40 :: v_dual_mul_f32 v40, 0xbe11bafb, v23
	v_dual_add_f32 v25, v30, v25 :: v_dual_mul_f32 v30, 0xbf75a155, v23
	s_delay_alu instid0(VALU_DEP_3) | instskip(SKIP_1) | instid1(VALU_DEP_4)
	v_fmamk_f32 v43, v29, 0x3f0a6770, v33
	v_fmac_f32_e32 v33, 0xbf0a6770, v29
	v_fmamk_f32 v35, v29, 0xbf7d64f0, v40
	v_fmac_f32_e32 v40, 0x3f7d64f0, v29
	s_delay_alu instid0(VALU_DEP_4) | instskip(NEXT) | instid1(VALU_DEP_3)
	v_dual_add_f32 v34, v43, v34 :: v_dual_mul_f32 v23, 0x3ed4b147, v23
	v_add_f32_e32 v35, v35, v41
	v_fmamk_f32 v41, v29, 0x3e903f40, v30
	v_dual_add_f32 v33, v33, v36 :: v_dual_fmac_f32 v30, 0xbe903f40, v29
	s_delay_alu instid0(VALU_DEP_4) | instskip(SKIP_1) | instid1(VALU_DEP_4)
	v_fmamk_f32 v36, v29, 0xbf68dda4, v23
	v_add_f32_e32 v40, v40, v42
	v_add_f32_e32 v20, v41, v37
	v_fmac_f32_e32 v23, 0x3f68dda4, v29
	s_delay_alu instid0(VALU_DEP_4) | instskip(SKIP_2) | instid1(VALU_DEP_4)
	v_dual_add_f32 v29, v30, v38 :: v_dual_add_f32 v30, v36, v39
	v_mul_f32_e32 v36, 0x3f575c64, v16
	v_fmamk_f32 v37, v27, 0x3e903f40, v28
	v_dual_add_f32 v23, v23, v26 :: v_dual_mul_f32 v26, 0xbf27a4f4, v16
	v_fmac_f32_e32 v28, 0xbe903f40, v27
	s_delay_alu instid0(VALU_DEP_4) | instskip(NEXT) | instid1(VALU_DEP_2)
	v_fmamk_f32 v38, v27, 0xbf0a6770, v36
	v_dual_fmac_f32 v36, 0x3f0a6770, v27 :: v_dual_add_f32 v25, v28, v25
	s_delay_alu instid0(VALU_DEP_2) | instskip(SKIP_4) | instid1(VALU_DEP_4)
	v_dual_add_f32 v28, v38, v35 :: v_dual_mul_f32 v35, 0x3ed4b147, v16
	v_dual_mul_f32 v16, 0xbe11bafb, v16 :: v_dual_add_f32 v31, v37, v31
	v_fmamk_f32 v37, v27, 0x3f4178ce, v26
	v_fmac_f32_e32 v26, 0xbf4178ce, v27
	v_add_f32_e32 v36, v36, v40
	v_fmamk_f32 v38, v27, 0x3f7d64f0, v16
	v_fmac_f32_e32 v16, 0xbf7d64f0, v27
	v_dual_add_f32 v34, v37, v34 :: v_dual_fmamk_f32 v37, v27, 0xbf68dda4, v35
	v_fmac_f32_e32 v35, 0x3f68dda4, v27
	s_delay_alu instid0(VALU_DEP_3) | instskip(NEXT) | instid1(VALU_DEP_3)
	v_dual_add_f32 v27, v38, v30 :: v_dual_add_f32 v16, v16, v23
	v_dual_add_f32 v23, v26, v33 :: v_dual_add_f32 v20, v37, v20
	s_delay_alu instid0(VALU_DEP_3)
	v_add_f32_e32 v8, v35, v29
	ds_store_2addr_b32 v7, v15, v31 offset1:9
	ds_store_2addr_b32 v7, v28, v34 offset0:18 offset1:27
	ds_store_2addr_b32 v7, v20, v27 offset0:36 offset1:45
	;; [unrolled: 1-line block ×4, first 2 shown]
	ds_store_b32 v7, v25 offset:360
.LBB0_21:
	s_or_b32 exec_lo, exec_lo, s1
	v_dual_mov_b32 v8, 0 :: v_dual_lshlrev_b32 v7, 1, v32
	s_waitcnt lgkmcnt(0)
	s_barrier
	buffer_gl0_inv
	v_lshlrev_b64 v[15:16], 3, v[7:8]
	s_delay_alu instid0(VALU_DEP_1) | instskip(NEXT) | instid1(VALU_DEP_1)
	v_add_co_u32 v15, s0, s8, v15
	v_add_co_ci_u32_e64 v16, s0, s9, v16, s0
	global_load_b128 v[25:28], v[15:16], off offset:720
	v_add_nc_u32_e32 v7, 0xc6, v32
	s_delay_alu instid0(VALU_DEP_1) | instskip(NEXT) | instid1(VALU_DEP_1)
	v_and_b32_e32 v20, 0xffff, v7
	v_mul_u32_u24_e32 v20, 0xa57f, v20
	s_delay_alu instid0(VALU_DEP_1) | instskip(NEXT) | instid1(VALU_DEP_1)
	v_lshrrev_b32_e32 v20, 22, v20
	v_mul_lo_u16 v20, 0x63, v20
	s_delay_alu instid0(VALU_DEP_1) | instskip(NEXT) | instid1(VALU_DEP_1)
	v_sub_nc_u16 v20, v7, v20
	v_and_b32_e32 v20, 0xffff, v20
	s_delay_alu instid0(VALU_DEP_1)
	v_lshlrev_b32_e32 v23, 4, v20
	global_load_b128 v[33:36], v23, s[8:9] offset:720
	ds_load_2addr_b32 v[29:30], v19 offset0:41 offset1:140
	ds_load_2addr_b32 v[37:38], v21 offset0:111 offset1:210
	;; [unrolled: 1-line block ×3, first 2 shown]
	ds_load_b32 v23, v17
	ds_load_2addr_b32 v[41:42], v18 offset0:99 offset1:198
	v_add_nc_u32_e32 v31, 0x200, v18
	s_waitcnt vmcnt(0) lgkmcnt(0)
	s_barrier
	buffer_gl0_inv
	v_mul_f32_e32 v46, v10, v28
	v_mul_f32_e32 v45, v38, v28
	v_dual_mul_f32 v47, v30, v26 :: v_dual_lshlrev_b32 v20, 2, v20
	v_mul_f32_e32 v44, v13, v26
	s_delay_alu instid0(VALU_DEP_3) | instskip(NEXT) | instid1(VALU_DEP_3)
	v_dual_mul_f32 v48, v39, v28 :: v_dual_fmac_f32 v45, v10, v27
	v_fmac_f32_e32 v47, v14, v25
	s_delay_alu instid0(VALU_DEP_4) | instskip(SKIP_3) | instid1(VALU_DEP_3)
	v_add3_u32 v20, 0, v20, v0
	v_mul_f32_e32 v0, v29, v26
	v_mul_f32_e32 v26, v14, v26
	v_fma_f32 v10, v38, v27, -v46
	v_dual_fmac_f32 v0, v13, v25 :: v_dual_add_nc_u32 v43, 0x800, v20
	v_fma_f32 v13, v29, v25, -v44
	v_mul_f32_e32 v28, v11, v28
	v_fma_f32 v14, v30, v25, -v26
	s_delay_alu instid0(VALU_DEP_4) | instskip(SKIP_1) | instid1(VALU_DEP_4)
	v_dual_fmac_f32 v48, v11, v27 :: v_dual_add_f32 v11, v24, v0
	v_add_f32_e32 v26, v0, v45
	v_fma_f32 v25, v39, v27, -v28
	v_dual_sub_f32 v27, v13, v10 :: v_dual_add_f32 v28, v23, v13
	v_add_f32_e32 v29, v5, v47
	v_dual_add_f32 v13, v13, v10 :: v_dual_sub_f32 v0, v0, v45
	v_dual_add_f32 v39, v41, v14 :: v_dual_add_f32 v30, v47, v48
	v_sub_f32_e32 v38, v14, v25
	v_dual_add_f32 v11, v11, v45 :: v_dual_fmac_f32 v24, -0.5, v26
	v_add_f32_e32 v14, v14, v25
	v_dual_fmac_f32 v23, -0.5, v13 :: v_dual_add_f32 v26, v28, v10
	s_delay_alu instid0(VALU_DEP_3) | instskip(NEXT) | instid1(VALU_DEP_3)
	v_dual_add_f32 v10, v29, v48 :: v_dual_fmamk_f32 v13, v27, 0xbf5db3d7, v24
	v_fma_f32 v28, -0.5, v14, v41
	v_fma_f32 v5, -0.5, v30, v5
	s_delay_alu instid0(VALU_DEP_4) | instskip(SKIP_2) | instid1(VALU_DEP_4)
	v_dual_fmac_f32 v24, 0x3f5db3d7, v27 :: v_dual_fmamk_f32 v27, v0, 0x3f5db3d7, v23
	v_dual_mul_f32 v29, v37, v34 :: v_dual_sub_f32 v44, v47, v48
	v_fmac_f32_e32 v23, 0xbf5db3d7, v0
	v_fmamk_f32 v0, v38, 0xbf5db3d7, v5
	v_fmac_f32_e32 v5, 0x3f5db3d7, v38
	s_delay_alu instid0(VALU_DEP_4)
	v_fmac_f32_e32 v29, v9, v33
	v_mul_f32_e32 v14, v9, v34
	v_mul_f32_e32 v34, v12, v36
	ds_store_2addr_b32 v18, v11, v13 offset1:99
	ds_store_2addr_b32 v31, v24, v10 offset0:70 offset1:169
	ds_store_2addr_b32 v19, v0, v5 offset0:140 offset1:239
	v_fma_f32 v9, v37, v33, -v14
	v_fma_f32 v33, v40, v35, -v34
	v_add_f32_e32 v14, v6, v29
	s_delay_alu instid0(VALU_DEP_3) | instskip(NEXT) | instid1(VALU_DEP_3)
	v_add_f32_e32 v24, v42, v9
	v_sub_f32_e32 v34, v9, v33
	v_mul_f32_e32 v30, v40, v36
	s_delay_alu instid0(VALU_DEP_3) | instskip(NEXT) | instid1(VALU_DEP_2)
	v_add_f32_e32 v24, v24, v33
	v_fmac_f32_e32 v30, v12, v35
	s_delay_alu instid0(VALU_DEP_1) | instskip(SKIP_1) | instid1(VALU_DEP_2)
	v_add_f32_e32 v12, v29, v30
	v_add_f32_e32 v10, v14, v30
	v_fmac_f32_e32 v6, -0.5, v12
	s_delay_alu instid0(VALU_DEP_1)
	v_fmamk_f32 v11, v34, 0xbf5db3d7, v6
	v_fmac_f32_e32 v6, 0x3f5db3d7, v34
	v_add_f32_e32 v34, v9, v33
	ds_store_2addr_b32 v43, v10, v11 offset0:82 offset1:181
	ds_store_b32 v20, v6 offset:3168
	s_waitcnt lgkmcnt(0)
	s_barrier
	buffer_gl0_inv
	ds_load_b32 v0, v17
	ds_load_2addr_b32 v[9:10], v19 offset0:41 offset1:140
	ds_load_2addr_b32 v[13:14], v21 offset0:111 offset1:210
	;; [unrolled: 1-line block ×4, first 2 shown]
	v_fmac_f32_e32 v42, -0.5, v34
	v_dual_sub_f32 v21, v29, v30 :: v_dual_add_f32 v22, v39, v25
	v_fmamk_f32 v25, v44, 0x3f5db3d7, v28
	v_fmac_f32_e32 v28, 0xbf5db3d7, v44
	s_waitcnt lgkmcnt(0)
	s_delay_alu instid0(VALU_DEP_3)
	v_fmamk_f32 v29, v21, 0x3f5db3d7, v42
	v_fmac_f32_e32 v42, 0xbf5db3d7, v21
	s_barrier
	buffer_gl0_inv
	ds_store_2addr_b32 v18, v26, v27 offset1:99
	ds_store_2addr_b32 v31, v23, v22 offset0:70 offset1:169
	ds_store_2addr_b32 v19, v25, v28 offset0:140 offset1:239
	;; [unrolled: 1-line block ×3, first 2 shown]
	ds_store_b32 v20, v42 offset:3168
	s_waitcnt lgkmcnt(0)
	s_barrier
	buffer_gl0_inv
	s_and_saveexec_b32 s0, vcc_lo
	s_cbranch_execz .LBB0_23
; %bb.22:
	v_lshlrev_b32_e32 v7, 1, v7
	v_mul_lo_u32 v31, s2, v4
	v_add_nc_u32_e32 v40, 0xc6, v32
	v_lshlrev_b64 v[1:2], 3, v[1:2]
	s_delay_alu instid0(VALU_DEP_4) | instskip(SKIP_1) | instid1(VALU_DEP_1)
	v_lshlrev_b64 v[19:20], 3, v[7:8]
	v_lshl_add_u32 v7, v32, 1, 0xc6
	v_lshlrev_b64 v[27:28], 3, v[7:8]
	s_delay_alu instid0(VALU_DEP_3) | instskip(NEXT) | instid1(VALU_DEP_4)
	v_add_co_u32 v19, vcc_lo, s8, v19
	v_add_co_ci_u32_e32 v20, vcc_lo, s9, v20, vcc_lo
	v_mul_lo_u32 v7, s3, v3
	s_clause 0x1
	global_load_b128 v[19:22], v[19:20], off offset:2304
	global_load_b128 v[23:26], v[15:16], off offset:2304
	v_add_co_u32 v15, vcc_lo, s8, v27
	v_add_co_ci_u32_e32 v16, vcc_lo, s9, v28, vcc_lo
	v_add_nc_u32_e32 v33, 0x600, v18
	v_add_nc_u32_e32 v35, 0xa00, v18
	;; [unrolled: 1-line block ×3, first 2 shown]
	global_load_b128 v[27:30], v[15:16], off offset:2304
	v_mad_u64_u32 v[15:16], null, s2, v3, 0
	ds_load_2addr_b32 v[3:4], v18 offset0:99 offset1:198
	v_mul_hi_u32 v18, 0xdca8f159, v32
	v_add_nc_u32_e32 v39, 0x63, v32
	ds_load_b32 v45, v17
	v_mov_b32_e32 v17, v8
	v_mul_hi_u32 v41, 0xdca8f159, v40
	v_add3_u32 v16, v16, v31, v7
	v_mul_hi_u32 v38, 0xdca8f159, v39
	v_lshrrev_b32_e32 v42, 8, v18
	v_mov_b32_e32 v18, v8
	s_delay_alu instid0(VALU_DEP_4) | instskip(SKIP_1) | instid1(VALU_DEP_4)
	v_lshlrev_b64 v[15:16], 3, v[15:16]
	v_lshrrev_b32_e32 v43, 8, v41
	v_mul_u32_u24_e32 v7, 0x129, v42
	v_lshrrev_b32_e32 v31, 8, v38
	s_delay_alu instid0(VALU_DEP_4) | instskip(NEXT) | instid1(VALU_DEP_3)
	v_add_co_u32 v15, vcc_lo, s6, v15
	v_sub_nc_u32_e32 v7, v32, v7
	s_delay_alu instid0(VALU_DEP_3) | instskip(SKIP_2) | instid1(VALU_DEP_4)
	v_mul_u32_u24_e32 v32, 0x129, v31
	v_add_co_ci_u32_e32 v16, vcc_lo, s7, v16, vcc_lo
	v_mul_u32_u24_e32 v41, 0x129, v43
	v_lshlrev_b32_e32 v42, 3, v7
	s_delay_alu instid0(VALU_DEP_4) | instskip(SKIP_2) | instid1(VALU_DEP_3)
	v_sub_nc_u32_e32 v7, v39, v32
	v_add_co_u32 v46, vcc_lo, v15, v1
	v_add_co_ci_u32_e32 v47, vcc_lo, v16, v2, vcc_lo
	v_mad_u32_u24 v7, 0x37b, v31, v7
	v_sub_nc_u32_e32 v44, v40, v41
	s_delay_alu instid0(VALU_DEP_4) | instskip(NEXT) | instid1(VALU_DEP_4)
	v_add_co_u32 v1, vcc_lo, v46, v42
	v_add_co_ci_u32_e32 v2, vcc_lo, 0, v47, vcc_lo
	s_delay_alu instid0(VALU_DEP_4) | instskip(SKIP_1) | instid1(VALU_DEP_4)
	v_lshlrev_b64 v[31:32], 3, v[7:8]
	v_add_nc_u32_e32 v16, 0x129, v7
	v_add_co_u32 v39, vcc_lo, 0x1000, v1
	s_delay_alu instid0(VALU_DEP_4) | instskip(NEXT) | instid1(VALU_DEP_4)
	v_add_co_ci_u32_e32 v40, vcc_lo, 0, v2, vcc_lo
	v_add_co_u32 v31, vcc_lo, v46, v31
	v_add_co_ci_u32_e32 v32, vcc_lo, v47, v32, vcc_lo
	s_waitcnt vmcnt(1)
	v_dual_mul_f32 v49, v14, v26 :: v_dual_mul_f32 v48, v9, v24
	ds_load_2addr_b32 v[37:38], v37 offset0:41 offset1:140
	v_add_nc_u32_e32 v7, 0x252, v7
	v_lshlrev_b64 v[15:16], 3, v[16:17]
	s_delay_alu instid0(VALU_DEP_1) | instskip(NEXT) | instid1(VALU_DEP_2)
	v_add_co_u32 v15, vcc_lo, v46, v15
	v_add_co_ci_u32_e32 v16, vcc_lo, v47, v16, vcc_lo
	s_waitcnt lgkmcnt(0)
	v_mul_f32_e32 v24, v37, v24
	v_lshlrev_b64 v[41:42], 3, v[7:8]
	v_mad_u32_u24 v7, 0x37b, v43, v44
	s_delay_alu instid0(VALU_DEP_1) | instskip(SKIP_3) | instid1(VALU_DEP_4)
	v_add_nc_u32_e32 v17, 0x129, v7
	v_lshlrev_b64 v[43:44], 3, v[7:8]
	v_add_nc_u32_e32 v7, 0x252, v7
	v_add_co_u32 v41, vcc_lo, v46, v41
	v_lshlrev_b64 v[17:18], 3, v[17:18]
	v_add_co_ci_u32_e32 v42, vcc_lo, v47, v42, vcc_lo
	s_delay_alu instid0(VALU_DEP_4)
	v_lshlrev_b64 v[7:8], 3, v[7:8]
	v_add_co_u32 v43, vcc_lo, v46, v43
	v_add_co_ci_u32_e32 v44, vcc_lo, v47, v44, vcc_lo
	v_add_co_u32 v17, vcc_lo, v46, v17
	v_add_co_ci_u32_e32 v18, vcc_lo, v47, v18, vcc_lo
	v_add_co_u32 v7, vcc_lo, v46, v7
	v_mul_f32_e32 v46, v13, v20
	ds_load_2addr_b32 v[33:34], v33 offset0:111 offset1:210
	v_add_co_ci_u32_e32 v8, vcc_lo, v47, v8, vcc_lo
	s_waitcnt lgkmcnt(0)
	v_dual_mul_f32 v47, v12, v22 :: v_dual_mul_f32 v20, v33, v20
	ds_load_2addr_b32 v[35:36], v35 offset0:53 offset1:152
	v_mul_f32_e32 v26, v34, v26
	v_fma_f32 v33, v33, v19, -v46
	s_waitcnt vmcnt(0)
	v_dual_fmac_f32 v20, v13, v19 :: v_dual_mul_f32 v13, v11, v30
	s_waitcnt lgkmcnt(0)
	v_dual_mul_f32 v19, v38, v28 :: v_dual_mul_f32 v22, v36, v22
	v_fma_f32 v36, v36, v21, -v47
	v_fmac_f32_e32 v26, v14, v25
	v_add_f32_e32 v14, v4, v33
	s_delay_alu instid0(VALU_DEP_4)
	v_fmac_f32_e32 v22, v12, v21
	v_mul_f32_e32 v12, v10, v28
	v_mul_f32_e32 v28, v35, v30
	v_fma_f32 v21, v37, v23, -v48
	v_fma_f32 v30, v34, v25, -v49
	v_dual_fmac_f32 v24, v9, v23 :: v_dual_add_f32 v25, v20, v22
	v_add_f32_e32 v9, v33, v36
	v_dual_sub_f32 v23, v20, v22 :: v_dual_add_f32 v20, v6, v20
	v_fma_f32 v34, v38, v27, -v12
	v_fma_f32 v35, v35, v29, -v13
	v_add_f32_e32 v13, v21, v30
	v_dual_fmac_f32 v19, v10, v27 :: v_dual_fmac_f32 v28, v11, v29
	v_add_f32_e32 v29, v24, v26
	v_fma_f32 v10, -0.5, v9, v4
	v_add_f32_e32 v4, v34, v35
	v_fma_f32 v9, -0.5, v25, v6
	v_dual_add_f32 v11, v20, v22 :: v_dual_add_f32 v6, v19, v28
	v_sub_f32_e32 v33, v33, v36
	v_dual_sub_f32 v27, v24, v26 :: v_dual_add_f32 v12, v14, v36
	v_dual_sub_f32 v37, v21, v30 :: v_dual_add_f32 v24, v0, v24
	v_dual_add_f32 v21, v45, v21 :: v_dual_sub_f32 v36, v19, v28
	v_dual_sub_f32 v38, v34, v35 :: v_dual_add_f32 v25, v3, v34
	v_fma_f32 v14, -0.5, v13, v45
	v_fma_f32 v13, -0.5, v29, v0
	v_dual_add_f32 v34, v5, v19 :: v_dual_add_f32 v19, v24, v26
	v_fma_f32 v4, -0.5, v4, v3
	v_fma_f32 v3, -0.5, v6, v5
	v_add_f32_e32 v20, v21, v30
	s_delay_alu instid0(VALU_DEP_4)
	v_dual_fmamk_f32 v22, v23, 0xbf5db3d7, v10 :: v_dual_add_f32 v5, v34, v28
	v_dual_fmac_f32 v10, 0x3f5db3d7, v23 :: v_dual_fmamk_f32 v21, v33, 0x3f5db3d7, v9
	v_add_f32_e32 v6, v25, v35
	v_fmamk_f32 v24, v27, 0xbf5db3d7, v14
	v_dual_fmamk_f32 v23, v37, 0x3f5db3d7, v13 :: v_dual_fmac_f32 v14, 0x3f5db3d7, v27
	v_dual_fmac_f32 v13, 0xbf5db3d7, v37 :: v_dual_fmamk_f32 v26, v36, 0xbf5db3d7, v4
	v_dual_fmamk_f32 v25, v38, 0x3f5db3d7, v3 :: v_dual_fmac_f32 v4, 0x3f5db3d7, v36
	v_fmac_f32_e32 v3, 0xbf5db3d7, v38
	v_fmac_f32_e32 v9, 0xbf5db3d7, v33
	s_clause 0x8
	global_store_b64 v[1:2], v[19:20], off
	global_store_b64 v[1:2], v[13:14], off offset:2376
	global_store_b64 v[39:40], v[23:24], off offset:656
	global_store_b64 v[31:32], v[5:6], off
	global_store_b64 v[15:16], v[3:4], off
	;; [unrolled: 1-line block ×6, first 2 shown]
.LBB0_23:
	s_nop 0
	s_sendmsg sendmsg(MSG_DEALLOC_VGPRS)
	s_endpgm
	.section	.rodata,"a",@progbits
	.p2align	6, 0x0
	.amdhsa_kernel fft_rtc_back_len891_factors_9_11_3_3_wgs_198_tpt_99_halfLds_sp_op_CI_CI_unitstride_sbrr_dirReg
		.amdhsa_group_segment_fixed_size 0
		.amdhsa_private_segment_fixed_size 0
		.amdhsa_kernarg_size 104
		.amdhsa_user_sgpr_count 15
		.amdhsa_user_sgpr_dispatch_ptr 0
		.amdhsa_user_sgpr_queue_ptr 0
		.amdhsa_user_sgpr_kernarg_segment_ptr 1
		.amdhsa_user_sgpr_dispatch_id 0
		.amdhsa_user_sgpr_private_segment_size 0
		.amdhsa_wavefront_size32 1
		.amdhsa_uses_dynamic_stack 0
		.amdhsa_enable_private_segment 0
		.amdhsa_system_sgpr_workgroup_id_x 1
		.amdhsa_system_sgpr_workgroup_id_y 0
		.amdhsa_system_sgpr_workgroup_id_z 0
		.amdhsa_system_sgpr_workgroup_info 0
		.amdhsa_system_vgpr_workitem_id 0
		.amdhsa_next_free_vgpr 66
		.amdhsa_next_free_sgpr 27
		.amdhsa_reserve_vcc 1
		.amdhsa_float_round_mode_32 0
		.amdhsa_float_round_mode_16_64 0
		.amdhsa_float_denorm_mode_32 3
		.amdhsa_float_denorm_mode_16_64 3
		.amdhsa_dx10_clamp 1
		.amdhsa_ieee_mode 1
		.amdhsa_fp16_overflow 0
		.amdhsa_workgroup_processor_mode 1
		.amdhsa_memory_ordered 1
		.amdhsa_forward_progress 0
		.amdhsa_shared_vgpr_count 0
		.amdhsa_exception_fp_ieee_invalid_op 0
		.amdhsa_exception_fp_denorm_src 0
		.amdhsa_exception_fp_ieee_div_zero 0
		.amdhsa_exception_fp_ieee_overflow 0
		.amdhsa_exception_fp_ieee_underflow 0
		.amdhsa_exception_fp_ieee_inexact 0
		.amdhsa_exception_int_div_zero 0
	.end_amdhsa_kernel
	.text
.Lfunc_end0:
	.size	fft_rtc_back_len891_factors_9_11_3_3_wgs_198_tpt_99_halfLds_sp_op_CI_CI_unitstride_sbrr_dirReg, .Lfunc_end0-fft_rtc_back_len891_factors_9_11_3_3_wgs_198_tpt_99_halfLds_sp_op_CI_CI_unitstride_sbrr_dirReg
                                        ; -- End function
	.section	.AMDGPU.csdata,"",@progbits
; Kernel info:
; codeLenInByte = 7332
; NumSgprs: 29
; NumVgprs: 66
; ScratchSize: 0
; MemoryBound: 0
; FloatMode: 240
; IeeeMode: 1
; LDSByteSize: 0 bytes/workgroup (compile time only)
; SGPRBlocks: 3
; VGPRBlocks: 8
; NumSGPRsForWavesPerEU: 29
; NumVGPRsForWavesPerEU: 66
; Occupancy: 16
; WaveLimiterHint : 1
; COMPUTE_PGM_RSRC2:SCRATCH_EN: 0
; COMPUTE_PGM_RSRC2:USER_SGPR: 15
; COMPUTE_PGM_RSRC2:TRAP_HANDLER: 0
; COMPUTE_PGM_RSRC2:TGID_X_EN: 1
; COMPUTE_PGM_RSRC2:TGID_Y_EN: 0
; COMPUTE_PGM_RSRC2:TGID_Z_EN: 0
; COMPUTE_PGM_RSRC2:TIDIG_COMP_CNT: 0
	.text
	.p2alignl 7, 3214868480
	.fill 96, 4, 3214868480
	.type	__hip_cuid_742f0347c7177e2f,@object ; @__hip_cuid_742f0347c7177e2f
	.section	.bss,"aw",@nobits
	.globl	__hip_cuid_742f0347c7177e2f
__hip_cuid_742f0347c7177e2f:
	.byte	0                               ; 0x0
	.size	__hip_cuid_742f0347c7177e2f, 1

	.ident	"AMD clang version 19.0.0git (https://github.com/RadeonOpenCompute/llvm-project roc-6.4.0 25133 c7fe45cf4b819c5991fe208aaa96edf142730f1d)"
	.section	".note.GNU-stack","",@progbits
	.addrsig
	.addrsig_sym __hip_cuid_742f0347c7177e2f
	.amdgpu_metadata
---
amdhsa.kernels:
  - .args:
      - .actual_access:  read_only
        .address_space:  global
        .offset:         0
        .size:           8
        .value_kind:     global_buffer
      - .offset:         8
        .size:           8
        .value_kind:     by_value
      - .actual_access:  read_only
        .address_space:  global
        .offset:         16
        .size:           8
        .value_kind:     global_buffer
      - .actual_access:  read_only
        .address_space:  global
        .offset:         24
        .size:           8
        .value_kind:     global_buffer
      - .actual_access:  read_only
        .address_space:  global
        .offset:         32
        .size:           8
        .value_kind:     global_buffer
      - .offset:         40
        .size:           8
        .value_kind:     by_value
      - .actual_access:  read_only
        .address_space:  global
        .offset:         48
        .size:           8
        .value_kind:     global_buffer
      - .actual_access:  read_only
        .address_space:  global
        .offset:         56
        .size:           8
        .value_kind:     global_buffer
      - .offset:         64
        .size:           4
        .value_kind:     by_value
      - .actual_access:  read_only
        .address_space:  global
        .offset:         72
        .size:           8
        .value_kind:     global_buffer
      - .actual_access:  read_only
        .address_space:  global
        .offset:         80
        .size:           8
        .value_kind:     global_buffer
      - .actual_access:  read_only
        .address_space:  global
        .offset:         88
        .size:           8
        .value_kind:     global_buffer
      - .actual_access:  write_only
        .address_space:  global
        .offset:         96
        .size:           8
        .value_kind:     global_buffer
    .group_segment_fixed_size: 0
    .kernarg_segment_align: 8
    .kernarg_segment_size: 104
    .language:       OpenCL C
    .language_version:
      - 2
      - 0
    .max_flat_workgroup_size: 198
    .name:           fft_rtc_back_len891_factors_9_11_3_3_wgs_198_tpt_99_halfLds_sp_op_CI_CI_unitstride_sbrr_dirReg
    .private_segment_fixed_size: 0
    .sgpr_count:     29
    .sgpr_spill_count: 0
    .symbol:         fft_rtc_back_len891_factors_9_11_3_3_wgs_198_tpt_99_halfLds_sp_op_CI_CI_unitstride_sbrr_dirReg.kd
    .uniform_work_group_size: 1
    .uses_dynamic_stack: false
    .vgpr_count:     66
    .vgpr_spill_count: 0
    .wavefront_size: 32
    .workgroup_processor_mode: 1
amdhsa.target:   amdgcn-amd-amdhsa--gfx1100
amdhsa.version:
  - 1
  - 2
...

	.end_amdgpu_metadata
